;; amdgpu-corpus repo=ROCm/rocFFT kind=compiled arch=gfx950 opt=O3
	.text
	.amdgcn_target "amdgcn-amd-amdhsa--gfx950"
	.amdhsa_code_object_version 6
	.protected	fft_rtc_fwd_len98_factors_2_7_7_wgs_252_tpt_14_sp_op_CI_CI_unitstride_sbrr_C2R_dirReg ; -- Begin function fft_rtc_fwd_len98_factors_2_7_7_wgs_252_tpt_14_sp_op_CI_CI_unitstride_sbrr_C2R_dirReg
	.globl	fft_rtc_fwd_len98_factors_2_7_7_wgs_252_tpt_14_sp_op_CI_CI_unitstride_sbrr_C2R_dirReg
	.p2align	8
	.type	fft_rtc_fwd_len98_factors_2_7_7_wgs_252_tpt_14_sp_op_CI_CI_unitstride_sbrr_C2R_dirReg,@function
fft_rtc_fwd_len98_factors_2_7_7_wgs_252_tpt_14_sp_op_CI_CI_unitstride_sbrr_C2R_dirReg: ; @fft_rtc_fwd_len98_factors_2_7_7_wgs_252_tpt_14_sp_op_CI_CI_unitstride_sbrr_C2R_dirReg
; %bb.0:
	s_load_dwordx4 s[4:7], s[0:1], 0x58
	s_load_dwordx4 s[8:11], s[0:1], 0x0
	;; [unrolled: 1-line block ×3, first 2 shown]
	v_mul_u32_u24_e32 v1, 0x124a, v0
	v_lshrrev_b32_e32 v2, 16, v1
	v_mad_u64_u32 v[8:9], s[2:3], s2, 18, v[2:3]
	v_mov_b32_e32 v10, 0
	v_mov_b32_e32 v9, v10
	s_waitcnt lgkmcnt(0)
	v_cmp_lt_u64_e64 s[2:3], s[10:11], 2
	v_mov_b64_e32 v[2:3], 0
	s_and_b64 vcc, exec, s[2:3]
	v_mov_b64_e32 v[4:5], v[2:3]
	v_mov_b64_e32 v[6:7], v[8:9]
	s_cbranch_vccnz .LBB0_8
; %bb.1:
	s_load_dwordx2 s[2:3], s[0:1], 0x10
	s_add_u32 s16, s14, 8
	s_addc_u32 s17, s15, 0
	s_add_u32 s18, s12, 8
	s_addc_u32 s19, s13, 0
	s_waitcnt lgkmcnt(0)
	s_add_u32 s20, s2, 8
	v_mov_b64_e32 v[2:3], 0
	s_addc_u32 s21, s3, 0
	s_mov_b64 s[22:23], 1
	v_mov_b64_e32 v[4:5], v[2:3]
	v_mov_b64_e32 v[12:13], v[8:9]
.LBB0_2:                                ; =>This Inner Loop Header: Depth=1
	s_load_dwordx2 s[24:25], s[20:21], 0x0
                                        ; implicit-def: $vgpr6_vgpr7
	s_waitcnt lgkmcnt(0)
	v_or_b32_e32 v11, s25, v13
	v_cmp_ne_u64_e32 vcc, 0, v[10:11]
	s_and_saveexec_b64 s[2:3], vcc
	s_xor_b64 s[26:27], exec, s[2:3]
	s_cbranch_execz .LBB0_4
; %bb.3:                                ;   in Loop: Header=BB0_2 Depth=1
	v_cvt_f32_u32_e32 v1, s24
	v_cvt_f32_u32_e32 v6, s25
	s_sub_u32 s2, 0, s24
	s_subb_u32 s3, 0, s25
	v_fmac_f32_e32 v1, 0x4f800000, v6
	v_rcp_f32_e32 v1, v1
	s_nop 0
	v_mul_f32_e32 v1, 0x5f7ffffc, v1
	v_mul_f32_e32 v6, 0x2f800000, v1
	v_trunc_f32_e32 v6, v6
	v_fmac_f32_e32 v1, 0xcf800000, v6
	v_cvt_u32_f32_e32 v9, v6
	v_cvt_u32_f32_e32 v1, v1
	v_mul_lo_u32 v6, s2, v9
	v_mul_hi_u32 v11, s2, v1
	v_mul_lo_u32 v7, s3, v1
	v_add_u32_e32 v11, v11, v6
	v_mul_lo_u32 v16, s2, v1
	v_add_u32_e32 v11, v11, v7
	v_mul_hi_u32 v6, v1, v16
	v_mul_hi_u32 v15, v1, v11
	v_mul_lo_u32 v14, v1, v11
	v_mov_b32_e32 v7, v10
	v_lshl_add_u64 v[6:7], v[6:7], 0, v[14:15]
	v_mul_hi_u32 v15, v9, v16
	v_mul_lo_u32 v16, v9, v16
	v_add_co_u32_e32 v6, vcc, v6, v16
	v_mul_hi_u32 v14, v9, v11
	s_nop 0
	v_addc_co_u32_e32 v6, vcc, v7, v15, vcc
	v_mov_b32_e32 v7, v10
	s_nop 0
	v_addc_co_u32_e32 v15, vcc, 0, v14, vcc
	v_mul_lo_u32 v14, v9, v11
	v_lshl_add_u64 v[6:7], v[6:7], 0, v[14:15]
	v_add_co_u32_e32 v1, vcc, v1, v6
	v_mul_lo_u32 v14, s2, v1
	s_nop 0
	v_addc_co_u32_e32 v9, vcc, v9, v7, vcc
	v_mul_lo_u32 v6, s2, v9
	v_mul_hi_u32 v7, s2, v1
	v_add_u32_e32 v6, v7, v6
	v_mul_lo_u32 v7, s3, v1
	v_add_u32_e32 v11, v6, v7
	v_mul_hi_u32 v17, v9, v14
	v_mul_lo_u32 v18, v9, v14
	v_mul_hi_u32 v7, v1, v11
	v_mul_lo_u32 v6, v1, v11
	v_mul_hi_u32 v14, v1, v14
	v_mov_b32_e32 v15, v10
	v_lshl_add_u64 v[6:7], v[14:15], 0, v[6:7]
	v_add_co_u32_e32 v6, vcc, v6, v18
	v_mul_hi_u32 v16, v9, v11
	s_nop 0
	v_addc_co_u32_e32 v6, vcc, v7, v17, vcc
	v_mul_lo_u32 v14, v9, v11
	s_nop 0
	v_addc_co_u32_e32 v15, vcc, 0, v16, vcc
	v_mov_b32_e32 v7, v10
	v_lshl_add_u64 v[6:7], v[6:7], 0, v[14:15]
	v_add_co_u32_e32 v1, vcc, v1, v6
	v_mul_hi_u32 v14, v12, v1
	s_nop 0
	v_addc_co_u32_e32 v9, vcc, v9, v7, vcc
	v_mad_u64_u32 v[6:7], s[2:3], v12, v9, 0
	v_mov_b32_e32 v15, v10
	v_lshl_add_u64 v[6:7], v[14:15], 0, v[6:7]
	v_mad_u64_u32 v[16:17], s[2:3], v13, v1, 0
	v_add_co_u32_e32 v1, vcc, v6, v16
	v_mad_u64_u32 v[14:15], s[2:3], v13, v9, 0
	s_nop 0
	v_addc_co_u32_e32 v6, vcc, v7, v17, vcc
	v_mov_b32_e32 v7, v10
	s_nop 0
	v_addc_co_u32_e32 v15, vcc, 0, v15, vcc
	v_lshl_add_u64 v[6:7], v[6:7], 0, v[14:15]
	v_mul_lo_u32 v1, s25, v6
	v_mul_lo_u32 v9, s24, v7
	v_mad_u64_u32 v[14:15], s[2:3], s24, v6, 0
	v_add3_u32 v1, v15, v9, v1
	v_sub_u32_e32 v9, v13, v1
	v_mov_b32_e32 v11, s25
	v_sub_co_u32_e32 v18, vcc, v12, v14
	v_lshl_add_u64 v[16:17], v[6:7], 0, 1
	s_nop 0
	v_subb_co_u32_e64 v9, s[2:3], v9, v11, vcc
	v_subrev_co_u32_e64 v11, s[2:3], s24, v18
	v_subb_co_u32_e32 v1, vcc, v13, v1, vcc
	s_nop 0
	v_subbrev_co_u32_e64 v9, s[2:3], 0, v9, s[2:3]
	v_cmp_le_u32_e64 s[2:3], s25, v9
	v_cmp_le_u32_e32 vcc, s25, v1
	s_nop 0
	v_cndmask_b32_e64 v14, 0, -1, s[2:3]
	v_cmp_le_u32_e64 s[2:3], s24, v11
	s_nop 1
	v_cndmask_b32_e64 v11, 0, -1, s[2:3]
	v_cmp_eq_u32_e64 s[2:3], s25, v9
	s_nop 1
	v_cndmask_b32_e64 v9, v14, v11, s[2:3]
	v_lshl_add_u64 v[14:15], v[6:7], 0, 2
	v_cmp_ne_u32_e64 s[2:3], 0, v9
	v_cndmask_b32_e64 v11, 0, -1, vcc
	v_cmp_le_u32_e32 vcc, s24, v18
	v_cndmask_b32_e64 v9, v17, v15, s[2:3]
	s_nop 0
	v_cndmask_b32_e64 v15, 0, -1, vcc
	v_cmp_eq_u32_e32 vcc, s25, v1
	s_nop 1
	v_cndmask_b32_e32 v1, v11, v15, vcc
	v_cmp_ne_u32_e32 vcc, 0, v1
	v_cndmask_b32_e64 v1, v16, v14, s[2:3]
	s_nop 0
	v_cndmask_b32_e32 v7, v7, v9, vcc
	v_cndmask_b32_e32 v6, v6, v1, vcc
.LBB0_4:                                ;   in Loop: Header=BB0_2 Depth=1
	s_andn2_saveexec_b64 s[2:3], s[26:27]
	s_cbranch_execz .LBB0_6
; %bb.5:                                ;   in Loop: Header=BB0_2 Depth=1
	v_cvt_f32_u32_e32 v1, s24
	s_sub_i32 s26, 0, s24
	v_rcp_iflag_f32_e32 v1, v1
	s_nop 0
	v_mul_f32_e32 v1, 0x4f7ffffe, v1
	v_cvt_u32_f32_e32 v1, v1
	v_mul_lo_u32 v6, s26, v1
	v_mul_hi_u32 v6, v1, v6
	v_add_u32_e32 v1, v1, v6
	v_mul_hi_u32 v1, v12, v1
	v_mul_lo_u32 v6, v1, s24
	v_sub_u32_e32 v6, v12, v6
	v_add_u32_e32 v7, 1, v1
	v_subrev_u32_e32 v9, s24, v6
	v_cmp_le_u32_e32 vcc, s24, v6
	s_nop 1
	v_cndmask_b32_e32 v6, v6, v9, vcc
	v_cndmask_b32_e32 v1, v1, v7, vcc
	v_add_u32_e32 v7, 1, v1
	v_cmp_le_u32_e32 vcc, s24, v6
	s_nop 1
	v_cndmask_b32_e32 v6, v1, v7, vcc
	v_mov_b32_e32 v7, v10
.LBB0_6:                                ;   in Loop: Header=BB0_2 Depth=1
	s_or_b64 exec, exec, s[2:3]
	v_mad_u64_u32 v[14:15], s[2:3], v6, s24, 0
	s_load_dwordx2 s[2:3], s[18:19], 0x0
	s_add_u32 s22, s22, 1
	v_mul_lo_u32 v1, v7, s24
	v_mul_lo_u32 v9, v6, s25
	s_load_dwordx2 s[24:25], s[16:17], 0x0
	s_addc_u32 s23, s23, 0
	v_add3_u32 v1, v15, v9, v1
	v_sub_co_u32_e32 v9, vcc, v12, v14
	s_add_u32 s16, s16, 8
	s_nop 0
	v_subb_co_u32_e32 v1, vcc, v13, v1, vcc
	s_addc_u32 s17, s17, 0
	s_waitcnt lgkmcnt(0)
	v_mul_lo_u32 v11, s2, v1
	v_mul_lo_u32 v12, s3, v9
	v_mad_u64_u32 v[2:3], s[2:3], s2, v9, v[2:3]
	s_add_u32 s18, s18, 8
	v_add3_u32 v3, v12, v3, v11
	s_addc_u32 s19, s19, 0
	v_mov_b64_e32 v[12:13], s[10:11]
	v_mul_lo_u32 v1, s24, v1
	v_mul_lo_u32 v11, s25, v9
	v_mad_u64_u32 v[4:5], s[2:3], s24, v9, v[4:5]
	s_add_u32 s20, s20, 8
	v_cmp_ge_u64_e32 vcc, s[22:23], v[12:13]
	v_add3_u32 v5, v11, v5, v1
	s_addc_u32 s21, s21, 0
	s_cbranch_vccnz .LBB0_8
; %bb.7:                                ;   in Loop: Header=BB0_2 Depth=1
	v_mov_b64_e32 v[12:13], v[6:7]
	s_branch .LBB0_2
.LBB0_8:
	s_load_dwordx2 s[0:1], s[0:1], 0x28
	s_lshl_b64 s[16:17], s[10:11], 3
	s_mov_b32 s10, 0x38e38e39
	v_mul_hi_u32 v1, v8, s10
	v_lshrrev_b32_e32 v1, 2, v1
	s_add_u32 s2, s14, s16
	v_mul_lo_u32 v1, v1, 18
	s_addc_u32 s3, s15, s17
	v_sub_u32_e32 v1, v8, v1
	s_waitcnt lgkmcnt(0)
	v_cmp_gt_u64_e32 vcc, s[0:1], v[6:7]
	v_cmp_le_u64_e64 s[0:1], s[0:1], v[6:7]
                                        ; implicit-def: $vgpr8
	s_and_saveexec_b64 s[10:11], s[0:1]
	s_xor_b64 s[0:1], exec, s[10:11]
; %bb.9:
	s_mov_b32 s10, 0x12492493
	v_mul_hi_u32 v2, v0, s10
	v_mul_u32_u24_e32 v2, 14, v2
	v_sub_u32_e32 v8, v0, v2
                                        ; implicit-def: $vgpr0
                                        ; implicit-def: $vgpr2_vgpr3
; %bb.10:
	s_or_saveexec_b64 s[10:11], s[0:1]
	s_load_dwordx2 s[2:3], s[2:3], 0x0
	v_mul_u32_u24_e32 v9, 0x63, v1
	v_lshlrev_b32_e32 v14, 3, v9
	s_xor_b64 exec, exec, s[10:11]
	s_cbranch_execz .LBB0_14
; %bb.11:
	s_add_u32 s0, s12, s16
	s_addc_u32 s1, s13, s17
	s_load_dwordx2 s[0:1], s[0:1], 0x0
	s_mov_b32 s12, 0x12492493
	s_waitcnt lgkmcnt(0)
	v_mul_lo_u32 v1, s1, v6
	v_mul_lo_u32 v8, s0, v7
	v_mad_u64_u32 v[10:11], s[0:1], s0, v6, 0
	v_add3_u32 v11, v11, v8, v1
	v_mul_hi_u32 v1, v0, s12
	v_mul_u32_u24_e32 v1, 14, v1
	v_sub_u32_e32 v8, v0, v1
	v_lshl_add_u64 v[0:1], v[10:11], 3, s[4:5]
	v_lshl_add_u64 v[0:1], v[2:3], 3, v[0:1]
	v_lshlrev_b32_e32 v2, 3, v8
	v_mov_b32_e32 v3, 0
	v_lshl_add_u64 v[10:11], v[0:1], 0, v[2:3]
	global_load_dwordx2 v[12:13], v[10:11], off
	global_load_dwordx2 v[16:17], v[10:11], off offset:112
	global_load_dwordx2 v[18:19], v[10:11], off offset:224
	;; [unrolled: 1-line block ×6, first 2 shown]
	v_add3_u32 v2, 0, v14, v2
	v_cmp_eq_u32_e64 s[0:1], 13, v8
	s_waitcnt vmcnt(5)
	ds_write2_b64 v2, v[12:13], v[16:17] offset1:14
	s_waitcnt vmcnt(3)
	ds_write2_b64 v2, v[18:19], v[20:21] offset0:28 offset1:42
	s_waitcnt vmcnt(1)
	ds_write2_b64 v2, v[22:23], v[24:25] offset0:56 offset1:70
	s_waitcnt vmcnt(0)
	ds_write_b64 v2, v[26:27] offset:672
	s_and_saveexec_b64 s[4:5], s[0:1]
	s_cbranch_execz .LBB0_13
; %bb.12:
	global_load_dwordx2 v[0:1], v[0:1], off offset:784
	v_mov_b32_e32 v8, 13
	s_waitcnt vmcnt(0)
	ds_write_b64 v2, v[0:1] offset:680
.LBB0_13:
	s_or_b64 exec, exec, s[4:5]
.LBB0_14:
	s_or_b64 exec, exec, s[10:11]
	v_lshl_add_u32 v12, v9, 3, 0
	v_lshlrev_b32_e32 v15, 3, v8
	v_add_u32_e32 v13, v12, v15
	s_waitcnt lgkmcnt(0)
	s_barrier
	v_sub_u32_e32 v10, v12, v15
	ds_read_b32 v1, v13
	ds_read_b32 v2, v10 offset:784
	v_cmp_ne_u32_e64 s[0:1], 0, v8
	s_waitcnt lgkmcnt(0)
	v_add_f32_e32 v0, v2, v1
	v_sub_f32_e32 v1, v1, v2
                                        ; implicit-def: $vgpr2_vgpr3
	s_and_saveexec_b64 s[4:5], s[0:1]
	s_xor_b64 s[0:1], exec, s[4:5]
	s_cbranch_execz .LBB0_16
; %bb.15:
	v_mov_b32_e32 v9, 0
	v_lshl_add_u64 v[2:3], v[8:9], 3, s[8:9]
	global_load_dwordx2 v[16:17], v[2:3], off offset:768
	ds_read_b32 v11, v10 offset:788
	ds_read_b32 v21, v13 offset:4
	v_mov_b32_e32 v18, v1
	v_mov_b32_e32 v20, v0
	;; [unrolled: 1-line block ×3, first 2 shown]
	v_mov_b64_e32 v[2:3], v[8:9]
	s_waitcnt lgkmcnt(0)
	v_add_f32_e32 v19, v11, v21
	v_sub_f32_e32 v21, v21, v11
	v_mov_b32_e32 v22, v19
	s_waitcnt vmcnt(0)
	v_pk_mul_f32 v[24:25], v[18:19], v[16:17] op_sel:[0,1]
	v_pk_fma_f32 v[18:19], v[18:19], v[16:17], v[20:21] op_sel:[0,1,0]
	v_mov_b32_e32 v1, v25
	v_mov_b32_e32 v25, v21
	v_pk_fma_f32 v[26:27], v[16:17], v[22:23], v[18:19] neg_lo:[1,0,0] neg_hi:[1,0,0]
	v_pk_fma_f32 v[18:19], v[16:17], v[22:23], v[18:19] op_sel_hi:[0,1,1]
	v_pk_add_f32 v[0:1], v[0:1], v[24:25] neg_lo:[0,1] neg_hi:[0,1]
	v_mov_b32_e32 v27, v19
	v_pk_fma_f32 v[0:1], v[16:17], v[22:23], v[0:1] op_sel_hi:[0,1,1]
	ds_write_b64 v10, v[0:1] offset:784
	v_mov_b64_e32 v[0:1], v[26:27]
.LBB0_16:
	s_andn2_saveexec_b64 s[0:1], s[0:1]
	s_cbranch_execz .LBB0_18
; %bb.17:
	ds_read_b64 v[2:3], v12 offset:392
	s_mov_b32 s4, 2.0
	s_mov_b32 s5, -2.0
	s_waitcnt lgkmcnt(0)
	v_pk_mul_f32 v[2:3], v[2:3], s[4:5]
	ds_write_b64 v12, v[2:3] offset:392
	v_mov_b64_e32 v[2:3], 0
.LBB0_18:
	s_or_b64 exec, exec, s[0:1]
	s_add_u32 s0, s8, 0x300
	s_addc_u32 s1, s9, 0
	v_lshl_add_u64 v[2:3], v[2:3], 3, s[0:1]
	global_load_dwordx2 v[16:17], v[2:3], off offset:112
	global_load_dwordx2 v[18:19], v[2:3], off offset:224
	ds_write_b64 v13, v[0:1]
	ds_read_b64 v[0:1], v10 offset:672
	ds_read_b64 v[20:21], v13 offset:112
	v_cmp_gt_u32_e64 s[0:1], 7, v8
	s_waitcnt lgkmcnt(0)
	v_pk_add_f32 v[22:23], v[20:21], v[0:1]
	v_pk_add_f32 v[0:1], v[20:21], v[0:1] neg_lo:[0,1] neg_hi:[0,1]
	v_mov_b32_e32 v20, v23
	v_mov_b32_e32 v21, v0
	;; [unrolled: 1-line block ×3, first 2 shown]
	s_waitcnt vmcnt(1)
	v_pk_mul_f32 v[24:25], v[20:21], v[16:17] op_sel:[0,1]
	s_nop 0
	v_pk_add_f32 v[26:27], v[22:23], v[24:25] op_sel:[0,1] op_sel_hi:[1,0]
	v_mov_b32_e32 v23, v24
	v_mov_b32_e32 v0, v25
	v_pk_fma_f32 v[24:25], v[16:17], v[20:21], v[26:27] neg_lo:[1,0,0] neg_hi:[1,0,0]
	v_pk_fma_f32 v[26:27], v[16:17], v[20:21], v[26:27] op_sel_hi:[0,1,1]
	v_pk_add_f32 v[0:1], v[22:23], v[0:1] neg_lo:[0,1] neg_hi:[0,1]
	v_mov_b32_e32 v25, v27
	v_pk_fma_f32 v[0:1], v[16:17], v[20:21], v[0:1] op_sel_hi:[0,1,1]
	ds_write_b64 v13, v[24:25] offset:112
	ds_write_b64 v10, v[0:1] offset:672
	ds_read_b64 v[0:1], v10 offset:560
	ds_read_b64 v[16:17], v13 offset:224
	s_waitcnt lgkmcnt(0)
	v_pk_add_f32 v[20:21], v[16:17], v[0:1]
	v_pk_add_f32 v[0:1], v[16:17], v[0:1] neg_lo:[0,1] neg_hi:[0,1]
	v_mov_b32_e32 v16, v21
	v_mov_b32_e32 v17, v0
	;; [unrolled: 1-line block ×3, first 2 shown]
	s_waitcnt vmcnt(0)
	v_pk_mul_f32 v[22:23], v[16:17], v[18:19] op_sel:[0,1]
	s_nop 0
	v_pk_add_f32 v[24:25], v[20:21], v[22:23] op_sel:[0,1] op_sel_hi:[1,0]
	v_mov_b32_e32 v21, v22
	v_mov_b32_e32 v0, v23
	v_pk_fma_f32 v[22:23], v[18:19], v[16:17], v[24:25] neg_lo:[1,0,0] neg_hi:[1,0,0]
	v_pk_fma_f32 v[24:25], v[18:19], v[16:17], v[24:25] op_sel_hi:[0,1,1]
	v_pk_add_f32 v[0:1], v[20:21], v[0:1] neg_lo:[0,1] neg_hi:[0,1]
	v_mov_b32_e32 v23, v25
	v_pk_fma_f32 v[0:1], v[18:19], v[16:17], v[0:1] op_sel_hi:[0,1,1]
	ds_write_b64 v13, v[22:23] offset:224
	ds_write_b64 v10, v[0:1] offset:560
	s_and_saveexec_b64 s[4:5], s[0:1]
	s_cbranch_execz .LBB0_20
; %bb.19:
	global_load_dwordx2 v[0:1], v[2:3], off offset:336
	ds_read_b64 v[2:3], v10 offset:448
	ds_read_b64 v[16:17], v13 offset:336
	s_waitcnt lgkmcnt(0)
	v_pk_add_f32 v[18:19], v[16:17], v[2:3]
	v_pk_add_f32 v[2:3], v[16:17], v[2:3] neg_lo:[0,1] neg_hi:[0,1]
	v_mov_b32_e32 v16, v19
	v_mov_b32_e32 v17, v2
	;; [unrolled: 1-line block ×3, first 2 shown]
	s_waitcnt vmcnt(0)
	v_pk_mul_f32 v[20:21], v[16:17], v[0:1] op_sel:[0,1]
	s_nop 0
	v_pk_add_f32 v[22:23], v[18:19], v[20:21] op_sel:[0,1] op_sel_hi:[1,0]
	v_mov_b32_e32 v19, v20
	v_mov_b32_e32 v2, v21
	v_pk_fma_f32 v[20:21], v[0:1], v[16:17], v[22:23] neg_lo:[1,0,0] neg_hi:[1,0,0]
	v_pk_fma_f32 v[22:23], v[0:1], v[16:17], v[22:23] op_sel_hi:[0,1,1]
	v_pk_add_f32 v[2:3], v[18:19], v[2:3] neg_lo:[0,1] neg_hi:[0,1]
	v_mov_b32_e32 v21, v23
	v_pk_fma_f32 v[0:1], v[0:1], v[16:17], v[2:3] op_sel_hi:[0,1,1]
	ds_write_b64 v13, v[20:21] offset:336
	ds_write_b64 v10, v[0:1] offset:448
.LBB0_20:
	s_or_b64 exec, exec, s[4:5]
	v_add3_u32 v9, 0, v15, v14
	s_waitcnt lgkmcnt(0)
	s_barrier
	s_barrier
	ds_read2_b64 v[0:3], v9 offset0:42 offset1:49
	ds_read_b64 v[10:11], v9 offset:728
	ds_read_b64 v[24:25], v13
	ds_read2_b64 v[16:19], v9 offset0:14 offset1:28
	ds_read2_b64 v[20:23], v9 offset0:63 offset1:77
	v_lshlrev_b32_e32 v28, 4, v8
	v_add_u32_e32 v15, v9, v15
	s_waitcnt lgkmcnt(2)
	v_pk_add_f32 v[26:27], v[24:25], v[2:3] neg_lo:[0,1] neg_hi:[0,1]
	v_add3_u32 v2, v28, 0, v14
	v_pk_fma_f32 v[24:25], v[24:25], 2.0, v[26:27] op_sel_hi:[1,0,1] neg_lo:[0,0,1] neg_hi:[0,0,1]
	s_waitcnt lgkmcnt(0)
	v_pk_add_f32 v[20:21], v[16:17], v[20:21] neg_lo:[0,1] neg_hi:[0,1]
	v_pk_add_f32 v[22:23], v[18:19], v[22:23] neg_lo:[0,1] neg_hi:[0,1]
	v_pk_fma_f32 v[16:17], v[16:17], 2.0, v[20:21] op_sel_hi:[1,0,1] neg_lo:[0,0,1] neg_hi:[0,0,1]
	v_pk_fma_f32 v[18:19], v[18:19], 2.0, v[22:23] op_sel_hi:[1,0,1] neg_lo:[0,0,1] neg_hi:[0,0,1]
	s_barrier
	ds_write2_b64 v15, v[24:25], v[26:27] offset1:1
	ds_write2_b64 v2, v[16:17], v[20:21] offset0:28 offset1:29
	ds_write2_b64 v2, v[18:19], v[22:23] offset0:56 offset1:57
	s_and_saveexec_b64 s[4:5], s[0:1]
	s_cbranch_execz .LBB0_22
; %bb.21:
	v_pk_add_f32 v[10:11], v[0:1], v[10:11] neg_lo:[0,1] neg_hi:[0,1]
	s_nop 0
	v_pk_fma_f32 v[0:1], v[0:1], 2.0, v[10:11] op_sel_hi:[1,0,1] neg_lo:[0,0,1] neg_hi:[0,0,1]
	ds_write2_b64 v2, v[0:1], v[10:11] offset0:84 offset1:85
.LBB0_22:
	s_or_b64 exec, exec, s[4:5]
	v_and_b32_e32 v15, 1, v8
	v_mul_u32_u24_e32 v0, 6, v15
	v_lshlrev_b32_e32 v10, 3, v0
	s_waitcnt lgkmcnt(0)
	s_barrier
	global_load_dwordx4 v[0:3], v10, s[8:9]
	global_load_dwordx4 v[16:19], v10, s[8:9] offset:16
	global_load_dwordx4 v[20:23], v10, s[8:9] offset:32
	ds_read_b64 v[10:11], v13
	ds_read2_b64 v[24:27], v9 offset0:14 offset1:28
	ds_read2_b64 v[28:31], v9 offset0:42 offset1:56
	;; [unrolled: 1-line block ×3, first 2 shown]
	v_lshrrev_b32_e32 v36, 1, v8
	v_mul_u32_u24_e32 v36, 14, v36
	v_or_b32_e32 v15, v36, v15
	v_lshlrev_b32_e32 v15, 3, v15
	v_add3_u32 v45, 0, v15, v14
	s_waitcnt lgkmcnt(2)
	v_mov_b32_e32 v14, v25
	v_mov_b32_e32 v36, v26
	s_waitcnt lgkmcnt(1)
	v_mov_b32_e32 v37, v31
	s_waitcnt lgkmcnt(0)
	v_mov_b32_e32 v40, v32
	v_mov_b32_e32 v41, v29
	;; [unrolled: 1-line block ×7, first 2 shown]
	s_mov_b32 s4, 0x3eae86e6
	s_mov_b32 s5, 0xbf08b237
	;; [unrolled: 1-line block ×10, first 2 shown]
	s_barrier
	s_mov_b32 s12, 0x3f5ff5aa
	s_mov_b32 s14, 0x3f3bfb3b
	s_waitcnt vmcnt(2)
	v_pk_mul_f32 v[46:47], v[0:1], v[24:25] op_sel_hi:[1,0]
	s_waitcnt vmcnt(1)
	v_mul_f32_e32 v15, v16, v29
	v_mov_b32_e32 v48, v3
	v_mov_b32_e32 v49, v19
	;; [unrolled: 1-line block ×3, first 2 shown]
	s_waitcnt vmcnt(0)
	v_mov_b32_e32 v16, v21
	v_mul_f32_e32 v56, v3, v27
	v_mul_f32_e32 v27, v17, v28
	v_mov_b32_e32 v28, v2
	v_mov_b32_e32 v29, v18
	v_mul_f32_e32 v31, v18, v31
	v_mul_f32_e32 v18, v21, v33
	v_mov_b32_e32 v50, v20
	v_pk_mul_f32 v[52:53], v[22:23], v[34:35] op_sel_hi:[1,0]
	v_pk_fma_f32 v[54:55], v[0:1], v[14:15], v[46:47] op_sel:[0,0,1] op_sel_hi:[1,1,0]
	v_pk_fma_f32 v[0:1], v[0:1], v[24:25], v[46:47] op_sel:[0,1,1] op_sel_hi:[1,1,0] neg_lo:[1,0,0] neg_hi:[1,0,0]
	v_pk_mul_f32 v[24:25], v[48:49], v[36:37]
	v_pk_mul_f32 v[16:17], v[16:17], v[40:41]
	v_fma_f32 v14, v2, v26, -v56
	v_fma_f32 v26, v20, v32, -v18
	v_pk_fma_f32 v[32:33], v[22:23], v[44:45], v[52:53] op_sel:[0,0,1] op_sel_hi:[1,1,0]
	v_pk_fma_f32 v[22:23], v[22:23], v[34:35], v[52:53] op_sel:[0,1,1] op_sel_hi:[1,1,0] neg_lo:[1,0,0] neg_hi:[1,0,0]
	v_pk_fma_f32 v[2:3], v[2:3], v[38:39], v[24:25]
	v_pk_fma_f32 v[24:25], v[28:29], v[38:39], v[24:25] neg_lo:[0,0,1] neg_hi:[0,0,1]
	v_pk_fma_f32 v[20:21], v[20:21], v[42:43], v[16:17]
	v_pk_fma_f32 v[16:17], v[50:51], v[42:43], v[16:17] neg_lo:[0,0,1] neg_hi:[0,0,1]
	v_mul_f32_e32 v19, v19, v30
	v_mov_b32_e32 v55, v1
	v_mov_b32_e32 v33, v23
	;; [unrolled: 1-line block ×6, first 2 shown]
	v_pk_add_f32 v[0:1], v[14:15], v[26:27]
	v_mov_b32_e32 v23, v26
	v_pk_add_f32 v[26:27], v[54:55], v[32:33]
	v_pk_add_f32 v[18:19], v[30:31], v[18:19]
	;; [unrolled: 1-line block ×3, first 2 shown]
	v_mov_b32_e32 v15, v14
	v_mov_b32_e32 v22, v1
	;; [unrolled: 1-line block ×7, first 2 shown]
	v_pk_add_f32 v[28:29], v[54:55], v[32:33] neg_lo:[0,1] neg_hi:[0,1]
	v_pk_add_f32 v[34:35], v[0:1], v[18:19]
	v_pk_add_f32 v[14:15], v[14:15], v[22:23] neg_lo:[0,1] neg_hi:[0,1]
	v_pk_add_f32 v[16:17], v[16:17], v[24:25]
	v_pk_add_f32 v[2:3], v[2:3], v[20:21] neg_lo:[0,1] neg_hi:[0,1]
	v_mov_b32_e32 v33, v29
	v_mov_b32_e32 v32, v14
	;; [unrolled: 1-line block ×6, first 2 shown]
	v_pk_add_f32 v[32:33], v[32:33], v[2:3] neg_lo:[0,1] neg_hi:[0,1]
	v_pk_add_f32 v[24:25], v[24:25], v[0:1] neg_lo:[0,1] neg_hi:[0,1]
	v_mov_b32_e32 v19, v35
	v_mov_b32_e32 v38, v16
	;; [unrolled: 1-line block ×3, first 2 shown]
	v_pk_add_f32 v[16:17], v[34:35], v[16:17]
	v_pk_add_f32 v[20:21], v[20:21], v[14:15] neg_lo:[0,1] neg_hi:[0,1]
	v_pk_add_f32 v[22:23], v[2:3], v[14:15]
	v_pk_mul_f32 v[32:33], v[32:33], s[10:11]
	v_pk_add_f32 v[38:39], v[18:19], v[38:39] neg_lo:[0,1] neg_hi:[0,1]
	v_pk_add_f32 v[10:11], v[16:17], v[10:11]
	v_pk_mul_f32 v[24:25], v[24:25], s[18:19]
	v_pk_mul_f32 v[36:37], v[20:21], s[4:5]
	v_pk_add_f32 v[22:23], v[22:23], v[28:29]
	v_pk_mul_f32 v[34:35], v[38:39], s[20:21]
	v_pk_fma_f32 v[16:17], v[16:17], s[16:17], v[10:11] op_sel_hi:[1,0,1] neg_lo:[1,0,0] neg_hi:[1,0,0]
	v_pk_fma_f32 v[38:39], v[38:39], s[20:21], v[24:25]
	v_pk_fma_f32 v[20:21], v[20:21], s[4:5], v[32:33]
	v_pk_add_f32 v[38:39], v[38:39], v[16:17]
	v_pk_fma_f32 v[20:21], v[22:23], s[0:1], v[20:21] op_sel_hi:[1,0,1]
	v_mov_b32_e32 v3, v15
	v_pk_add_f32 v[40:41], v[38:39], v[20:21]
	v_pk_add_f32 v[20:21], v[38:39], v[20:21] neg_lo:[0,1] neg_hi:[0,1]
	v_mov_b32_e32 v38, v40
	v_mov_b32_e32 v39, v21
	;; [unrolled: 1-line block ×4, first 2 shown]
	ds_write2_b64 v45, v[10:11], v[38:39] offset1:2
	v_pk_add_f32 v[2:3], v[2:3], v[28:29] neg_lo:[0,1] neg_hi:[0,1]
	v_pk_add_f32 v[0:1], v[0:1], v[18:19] neg_lo:[0,1] neg_hi:[0,1]
	v_mov_b32_e32 v10, v34
	v_mov_b32_e32 v11, v25
	;; [unrolled: 1-line block ×6, first 2 shown]
	v_pk_fma_f32 v[10:11], v[0:1], s[14:15], v[10:11] op_sel_hi:[1,0,1] neg_lo:[1,0,1] neg_hi:[1,0,1]
	v_pk_fma_f32 v[14:15], v[2:3], s[12:13], v[14:15] op_sel_hi:[1,0,1] neg_lo:[1,0,1] neg_hi:[1,0,1]
	v_pk_fma_f32 v[0:1], v[0:1], s[14:15], v[24:25] op_sel_hi:[1,0,1] neg_lo:[0,0,1] neg_hi:[0,0,1]
	v_pk_fma_f32 v[2:3], v[2:3], s[12:13], v[32:33] op_sel_hi:[1,0,1] neg_lo:[0,0,1] neg_hi:[0,0,1]
	v_pk_add_f32 v[10:11], v[10:11], v[16:17]
	v_pk_fma_f32 v[14:15], v[22:23], s[0:1], v[14:15] op_sel_hi:[1,0,1]
	v_pk_add_f32 v[0:1], v[0:1], v[16:17]
	v_pk_fma_f32 v[2:3], v[22:23], s[0:1], v[2:3] op_sel_hi:[1,0,1]
	v_pk_add_f32 v[18:19], v[10:11], v[14:15]
	v_pk_add_f32 v[10:11], v[10:11], v[14:15] neg_lo:[0,1] neg_hi:[0,1]
	v_pk_add_f32 v[16:17], v[0:1], v[2:3] neg_lo:[0,1] neg_hi:[0,1]
	v_pk_add_f32 v[0:1], v[0:1], v[2:3]
	v_mov_b32_e32 v15, v11
	v_mov_b32_e32 v3, v1
	;; [unrolled: 1-line block ×4, first 2 shown]
	ds_write2_b64 v45, v[0:1], v[10:11] offset0:8 offset1:10
	v_mul_u32_u24_e32 v0, 6, v8
	v_mov_b32_e32 v14, v18
	v_mov_b32_e32 v2, v16
	;; [unrolled: 1-line block ×3, first 2 shown]
	v_lshlrev_b32_e32 v10, 3, v0
	ds_write2_b64 v45, v[14:15], v[2:3] offset0:4 offset1:6
	ds_write_b64 v45, v[20:21] offset:96
	s_waitcnt lgkmcnt(0)
	s_barrier
	global_load_dwordx4 v[0:3], v10, s[8:9] offset:96
	global_load_dwordx4 v[14:17], v10, s[8:9] offset:112
	;; [unrolled: 1-line block ×3, first 2 shown]
	ds_read2_b64 v[22:25], v9 offset0:14 offset1:28
	ds_read2_b64 v[26:29], v9 offset0:42 offset1:56
	ds_read_b64 v[10:11], v13
	ds_read2_b64 v[30:33], v9 offset0:70 offset1:84
	s_waitcnt lgkmcnt(0)
	v_mov_b32_e32 v34, v23
	v_mov_b32_e32 v36, v24
	;; [unrolled: 1-line block ×5, first 2 shown]
	s_barrier
	s_waitcnt vmcnt(2)
	v_pk_mul_f32 v[40:41], v[0:1], v[22:23] op_sel_hi:[1,0]
	v_mul_f32_e32 v13, v3, v25
	v_pk_fma_f32 v[34:35], v[0:1], v[34:35], v[40:41] op_sel:[0,0,1] op_sel_hi:[1,1,0]
	v_pk_fma_f32 v[0:1], v[0:1], v[22:23], v[40:41] op_sel:[0,1,1] op_sel_hi:[1,1,0] neg_lo:[1,0,0] neg_hi:[1,0,0]
	v_fma_f32 v22, v2, v24, -v13
	v_mov_b32_e32 v24, v30
	v_mov_b32_e32 v25, v27
	s_waitcnt vmcnt(1)
	v_mul_f32_e32 v23, v14, v27
	v_mov_b32_e32 v40, v31
	v_mov_b32_e32 v44, v3
	;; [unrolled: 1-line block ×3, first 2 shown]
	s_waitcnt vmcnt(0)
	v_mul_f32_e32 v0, v19, v31
	v_mov_b32_e32 v31, v14
	v_mov_b32_e32 v14, v19
	;; [unrolled: 1-line block ×3, first 2 shown]
	v_mul_f32_e32 v27, v15, v26
	v_mov_b32_e32 v42, v2
	v_mov_b32_e32 v43, v16
	v_pk_mul_f32 v[36:37], v[44:45], v[36:37]
	v_fma_f32 v26, v18, v30, -v0
	v_mov_b32_e32 v30, v18
	v_pk_mul_f32 v[14:15], v[14:15], v[24:25]
	v_mov_b32_e32 v0, v33
	v_pk_mul_f32 v[24:25], v[20:21], v[32:33] op_sel_hi:[1,0]
	v_pk_fma_f32 v[2:3], v[2:3], v[38:39], v[36:37]
	v_pk_fma_f32 v[36:37], v[42:43], v[38:39], v[36:37] neg_lo:[0,0,1] neg_hi:[0,0,1]
	v_pk_fma_f32 v[18:19], v[18:19], v[40:41], v[14:15]
	v_pk_fma_f32 v[14:15], v[30:31], v[40:41], v[14:15] neg_lo:[0,0,1] neg_hi:[0,0,1]
	v_pk_fma_f32 v[30:31], v[20:21], v[0:1], v[24:25] op_sel:[0,0,1] op_sel_hi:[1,1,0]
	v_pk_fma_f32 v[20:21], v[20:21], v[32:33], v[24:25] op_sel:[0,1,1] op_sel_hi:[1,1,0] neg_lo:[1,0,0] neg_hi:[1,0,0]
	v_mov_b32_e32 v35, v1
	v_mov_b32_e32 v3, v37
	v_mul_f32_e32 v29, v16, v29
	v_mul_f32_e32 v17, v17, v28
	v_mov_b32_e32 v19, v15
	v_mov_b32_e32 v31, v21
	;; [unrolled: 1-line block ×4, first 2 shown]
	v_pk_add_f32 v[24:25], v[34:35], v[30:31]
	v_pk_add_f32 v[32:33], v[2:3], v[18:19]
	;; [unrolled: 1-line block ×4, first 2 shown]
	v_pk_add_f32 v[2:3], v[2:3], v[18:19] neg_lo:[0,1] neg_hi:[0,1]
	v_mov_b32_e32 v18, v1
	v_mov_b32_e32 v19, v22
	;; [unrolled: 1-line block ×8, first 2 shown]
	v_pk_add_f32 v[30:31], v[34:35], v[30:31] neg_lo:[0,1] neg_hi:[0,1]
	v_pk_add_f32 v[18:19], v[18:19], v[20:21] neg_lo:[0,1] neg_hi:[0,1]
	v_pk_add_f32 v[34:35], v[16:17], v[0:1]
	v_pk_add_f32 v[14:15], v[14:15], v[36:37]
	v_mov_b32_e32 v26, v18
	v_mov_b32_e32 v27, v31
	;; [unrolled: 1-line block ×6, first 2 shown]
	v_pk_add_f32 v[26:27], v[26:27], v[2:3] neg_lo:[0,1] neg_hi:[0,1]
	v_pk_add_f32 v[36:37], v[36:37], v[16:17] neg_lo:[0,1] neg_hi:[0,1]
	v_mov_b32_e32 v1, v35
	v_mov_b32_e32 v38, v14
	;; [unrolled: 1-line block ×3, first 2 shown]
	v_pk_add_f32 v[14:15], v[34:35], v[14:15]
	v_pk_add_f32 v[20:21], v[20:21], v[18:19] neg_lo:[0,1] neg_hi:[0,1]
	v_pk_mul_f32 v[26:27], v[26:27], s[10:11]
	v_pk_add_f32 v[28:29], v[2:3], v[18:19]
	v_pk_add_f32 v[38:39], v[0:1], v[38:39] neg_lo:[0,1] neg_hi:[0,1]
	v_pk_add_f32 v[10:11], v[14:15], v[10:11]
	v_pk_mul_f32 v[34:35], v[36:37], s[18:19]
	v_pk_mul_f32 v[22:23], v[20:21], s[4:5]
	v_pk_add_f32 v[28:29], v[28:29], v[30:31]
	v_pk_mul_f32 v[36:37], v[38:39], s[20:21]
	v_pk_fma_f32 v[14:15], v[14:15], s[16:17], v[10:11] op_sel_hi:[1,0,1] neg_lo:[1,0,0] neg_hi:[1,0,0]
	v_pk_fma_f32 v[38:39], v[38:39], s[20:21], v[34:35]
	v_pk_fma_f32 v[20:21], v[20:21], s[4:5], v[26:27]
	v_pk_add_f32 v[38:39], v[38:39], v[14:15]
	v_pk_fma_f32 v[20:21], v[28:29], s[0:1], v[20:21] op_sel_hi:[1,0,1]
	v_mov_b32_e32 v3, v19
	v_pk_add_f32 v[40:41], v[38:39], v[20:21]
	v_pk_add_f32 v[20:21], v[38:39], v[20:21] neg_lo:[0,1] neg_hi:[0,1]
	v_mov_b32_e32 v38, v40
	v_mov_b32_e32 v39, v21
	;; [unrolled: 1-line block ×4, first 2 shown]
	ds_write2_b64 v9, v[10:11], v[38:39] offset1:14
	v_pk_add_f32 v[2:3], v[2:3], v[30:31] neg_lo:[0,1] neg_hi:[0,1]
	v_pk_add_f32 v[0:1], v[16:17], v[0:1] neg_lo:[0,1] neg_hi:[0,1]
	v_mov_b32_e32 v10, v36
	v_mov_b32_e32 v11, v35
	;; [unrolled: 1-line block ×6, first 2 shown]
	v_pk_fma_f32 v[10:11], v[0:1], s[14:15], v[10:11] op_sel_hi:[1,0,1] neg_lo:[1,0,1] neg_hi:[1,0,1]
	v_pk_fma_f32 v[16:17], v[2:3], s[12:13], v[16:17] op_sel_hi:[1,0,1] neg_lo:[1,0,1] neg_hi:[1,0,1]
	;; [unrolled: 1-line block ×4, first 2 shown]
	v_pk_add_f32 v[10:11], v[10:11], v[14:15]
	v_pk_fma_f32 v[16:17], v[28:29], s[0:1], v[16:17] op_sel_hi:[1,0,1]
	v_pk_add_f32 v[0:1], v[0:1], v[14:15]
	v_pk_fma_f32 v[2:3], v[28:29], s[0:1], v[2:3] op_sel_hi:[1,0,1]
	v_pk_add_f32 v[18:19], v[10:11], v[16:17]
	v_pk_add_f32 v[10:11], v[10:11], v[16:17] neg_lo:[0,1] neg_hi:[0,1]
	v_pk_add_f32 v[14:15], v[0:1], v[2:3] neg_lo:[0,1] neg_hi:[0,1]
	v_pk_add_f32 v[0:1], v[0:1], v[2:3]
	v_mov_b32_e32 v16, v18
	v_mov_b32_e32 v17, v11
	;; [unrolled: 1-line block ×7, first 2 shown]
	ds_write2_b64 v9, v[16:17], v[2:3] offset0:28 offset1:42
	ds_write2_b64 v9, v[0:1], v[10:11] offset0:56 offset1:70
	ds_write_b64 v9, v[20:21] offset:672
	s_waitcnt lgkmcnt(0)
	s_barrier
	s_and_saveexec_b64 s[0:1], vcc
	s_cbranch_execz .LBB0_24
; %bb.23:
	v_mul_lo_u32 v0, s3, v6
	v_mul_lo_u32 v1, s2, v7
	v_mad_u64_u32 v[6:7], s[0:1], s2, v6, 0
	v_lshl_add_u32 v12, v8, 3, v12
	v_add3_u32 v7, v7, v1, v0
	ds_read2_b64 v[0:3], v12 offset1:14
	v_lshl_add_u64 v[6:7], v[6:7], 3, s[6:7]
	v_mov_b32_e32 v9, 0
	v_lshl_add_u64 v[10:11], v[4:5], 3, v[6:7]
	v_lshl_add_u64 v[4:5], v[8:9], 3, v[10:11]
	s_waitcnt lgkmcnt(0)
	global_store_dwordx2 v[4:5], v[0:1], off
	ds_read2_b64 v[4:7], v12 offset0:28 offset1:42
	v_add_u32_e32 v0, 14, v8
	v_mov_b32_e32 v1, v9
	v_lshl_add_u64 v[0:1], v[0:1], 3, v[10:11]
	global_store_dwordx2 v[0:1], v[2:3], off
	v_add_u32_e32 v0, 28, v8
	v_mov_b32_e32 v1, v9
	v_lshl_add_u64 v[0:1], v[0:1], 3, v[10:11]
	s_waitcnt lgkmcnt(0)
	global_store_dwordx2 v[0:1], v[4:5], off
	v_add_u32_e32 v0, 42, v8
	v_mov_b32_e32 v1, v9
	v_lshl_add_u64 v[4:5], v[0:1], 3, v[10:11]
	ds_read2_b64 v[0:3], v12 offset0:56 offset1:70
	global_store_dwordx2 v[4:5], v[6:7], off
	v_add_u32_e32 v4, 56, v8
	v_mov_b32_e32 v5, v9
	v_lshl_add_u64 v[4:5], v[4:5], 3, v[10:11]
	s_waitcnt lgkmcnt(0)
	global_store_dwordx2 v[4:5], v[0:1], off
	ds_read_b64 v[4:5], v12 offset:672
	v_add_u32_e32 v0, 0x46, v8
	v_mov_b32_e32 v1, v9
	v_lshl_add_u64 v[0:1], v[0:1], 3, v[10:11]
	v_add_u32_e32 v8, 0x54, v8
	global_store_dwordx2 v[0:1], v[2:3], off
	v_lshl_add_u64 v[0:1], v[8:9], 3, v[10:11]
	s_waitcnt lgkmcnt(0)
	global_store_dwordx2 v[0:1], v[4:5], off
.LBB0_24:
	s_endpgm
	.section	.rodata,"a",@progbits
	.p2align	6, 0x0
	.amdhsa_kernel fft_rtc_fwd_len98_factors_2_7_7_wgs_252_tpt_14_sp_op_CI_CI_unitstride_sbrr_C2R_dirReg
		.amdhsa_group_segment_fixed_size 0
		.amdhsa_private_segment_fixed_size 0
		.amdhsa_kernarg_size 104
		.amdhsa_user_sgpr_count 2
		.amdhsa_user_sgpr_dispatch_ptr 0
		.amdhsa_user_sgpr_queue_ptr 0
		.amdhsa_user_sgpr_kernarg_segment_ptr 1
		.amdhsa_user_sgpr_dispatch_id 0
		.amdhsa_user_sgpr_kernarg_preload_length 0
		.amdhsa_user_sgpr_kernarg_preload_offset 0
		.amdhsa_user_sgpr_private_segment_size 0
		.amdhsa_uses_dynamic_stack 0
		.amdhsa_enable_private_segment 0
		.amdhsa_system_sgpr_workgroup_id_x 1
		.amdhsa_system_sgpr_workgroup_id_y 0
		.amdhsa_system_sgpr_workgroup_id_z 0
		.amdhsa_system_sgpr_workgroup_info 0
		.amdhsa_system_vgpr_workitem_id 0
		.amdhsa_next_free_vgpr 57
		.amdhsa_next_free_sgpr 28
		.amdhsa_accum_offset 60
		.amdhsa_reserve_vcc 1
		.amdhsa_float_round_mode_32 0
		.amdhsa_float_round_mode_16_64 0
		.amdhsa_float_denorm_mode_32 3
		.amdhsa_float_denorm_mode_16_64 3
		.amdhsa_dx10_clamp 1
		.amdhsa_ieee_mode 1
		.amdhsa_fp16_overflow 0
		.amdhsa_tg_split 0
		.amdhsa_exception_fp_ieee_invalid_op 0
		.amdhsa_exception_fp_denorm_src 0
		.amdhsa_exception_fp_ieee_div_zero 0
		.amdhsa_exception_fp_ieee_overflow 0
		.amdhsa_exception_fp_ieee_underflow 0
		.amdhsa_exception_fp_ieee_inexact 0
		.amdhsa_exception_int_div_zero 0
	.end_amdhsa_kernel
	.text
.Lfunc_end0:
	.size	fft_rtc_fwd_len98_factors_2_7_7_wgs_252_tpt_14_sp_op_CI_CI_unitstride_sbrr_C2R_dirReg, .Lfunc_end0-fft_rtc_fwd_len98_factors_2_7_7_wgs_252_tpt_14_sp_op_CI_CI_unitstride_sbrr_C2R_dirReg
                                        ; -- End function
	.section	.AMDGPU.csdata,"",@progbits
; Kernel info:
; codeLenInByte = 4560
; NumSgprs: 34
; NumVgprs: 57
; NumAgprs: 0
; TotalNumVgprs: 57
; ScratchSize: 0
; MemoryBound: 0
; FloatMode: 240
; IeeeMode: 1
; LDSByteSize: 0 bytes/workgroup (compile time only)
; SGPRBlocks: 4
; VGPRBlocks: 7
; NumSGPRsForWavesPerEU: 34
; NumVGPRsForWavesPerEU: 57
; AccumOffset: 60
; Occupancy: 8
; WaveLimiterHint : 1
; COMPUTE_PGM_RSRC2:SCRATCH_EN: 0
; COMPUTE_PGM_RSRC2:USER_SGPR: 2
; COMPUTE_PGM_RSRC2:TRAP_HANDLER: 0
; COMPUTE_PGM_RSRC2:TGID_X_EN: 1
; COMPUTE_PGM_RSRC2:TGID_Y_EN: 0
; COMPUTE_PGM_RSRC2:TGID_Z_EN: 0
; COMPUTE_PGM_RSRC2:TIDIG_COMP_CNT: 0
; COMPUTE_PGM_RSRC3_GFX90A:ACCUM_OFFSET: 14
; COMPUTE_PGM_RSRC3_GFX90A:TG_SPLIT: 0
	.text
	.p2alignl 6, 3212836864
	.fill 256, 4, 3212836864
	.type	__hip_cuid_7fcdf157ed168deb,@object ; @__hip_cuid_7fcdf157ed168deb
	.section	.bss,"aw",@nobits
	.globl	__hip_cuid_7fcdf157ed168deb
__hip_cuid_7fcdf157ed168deb:
	.byte	0                               ; 0x0
	.size	__hip_cuid_7fcdf157ed168deb, 1

	.ident	"AMD clang version 19.0.0git (https://github.com/RadeonOpenCompute/llvm-project roc-6.4.0 25133 c7fe45cf4b819c5991fe208aaa96edf142730f1d)"
	.section	".note.GNU-stack","",@progbits
	.addrsig
	.addrsig_sym __hip_cuid_7fcdf157ed168deb
	.amdgpu_metadata
---
amdhsa.kernels:
  - .agpr_count:     0
    .args:
      - .actual_access:  read_only
        .address_space:  global
        .offset:         0
        .size:           8
        .value_kind:     global_buffer
      - .offset:         8
        .size:           8
        .value_kind:     by_value
      - .actual_access:  read_only
        .address_space:  global
        .offset:         16
        .size:           8
        .value_kind:     global_buffer
      - .actual_access:  read_only
        .address_space:  global
        .offset:         24
        .size:           8
        .value_kind:     global_buffer
      - .actual_access:  read_only
        .address_space:  global
        .offset:         32
        .size:           8
        .value_kind:     global_buffer
      - .offset:         40
        .size:           8
        .value_kind:     by_value
      - .actual_access:  read_only
        .address_space:  global
        .offset:         48
        .size:           8
        .value_kind:     global_buffer
      - .actual_access:  read_only
        .address_space:  global
        .offset:         56
        .size:           8
        .value_kind:     global_buffer
      - .offset:         64
        .size:           4
        .value_kind:     by_value
      - .actual_access:  read_only
        .address_space:  global
        .offset:         72
        .size:           8
        .value_kind:     global_buffer
      - .actual_access:  read_only
        .address_space:  global
        .offset:         80
        .size:           8
        .value_kind:     global_buffer
      - .actual_access:  read_only
        .address_space:  global
        .offset:         88
        .size:           8
        .value_kind:     global_buffer
      - .actual_access:  write_only
        .address_space:  global
        .offset:         96
        .size:           8
        .value_kind:     global_buffer
    .group_segment_fixed_size: 0
    .kernarg_segment_align: 8
    .kernarg_segment_size: 104
    .language:       OpenCL C
    .language_version:
      - 2
      - 0
    .max_flat_workgroup_size: 252
    .name:           fft_rtc_fwd_len98_factors_2_7_7_wgs_252_tpt_14_sp_op_CI_CI_unitstride_sbrr_C2R_dirReg
    .private_segment_fixed_size: 0
    .sgpr_count:     34
    .sgpr_spill_count: 0
    .symbol:         fft_rtc_fwd_len98_factors_2_7_7_wgs_252_tpt_14_sp_op_CI_CI_unitstride_sbrr_C2R_dirReg.kd
    .uniform_work_group_size: 1
    .uses_dynamic_stack: false
    .vgpr_count:     57
    .vgpr_spill_count: 0
    .wavefront_size: 64
amdhsa.target:   amdgcn-amd-amdhsa--gfx950
amdhsa.version:
  - 1
  - 2
...

	.end_amdgpu_metadata
